;; amdgpu-corpus repo=zjin-lcf/HeCBench kind=compiled arch=gfx1250 opt=O3
	.amdgcn_target "amdgcn-amd-amdhsa--gfx1250"
	.amdhsa_code_object_version 6
	.text
	.protected	_Z29tensor_packed_accessor_kernel27GenericPackedTensorAccessorIfLm1E17RestrictPtrTraitslES_IfLm2ES0_lES1_ ; -- Begin function _Z29tensor_packed_accessor_kernel27GenericPackedTensorAccessorIfLm1E17RestrictPtrTraitslES_IfLm2ES0_lES1_
	.globl	_Z29tensor_packed_accessor_kernel27GenericPackedTensorAccessorIfLm1E17RestrictPtrTraitslES_IfLm2ES0_lES1_
	.p2align	8
	.type	_Z29tensor_packed_accessor_kernel27GenericPackedTensorAccessorIfLm1E17RestrictPtrTraitslES_IfLm2ES0_lES1_,@function
_Z29tensor_packed_accessor_kernel27GenericPackedTensorAccessorIfLm1E17RestrictPtrTraitslES_IfLm2ES0_lES1_: ; @_Z29tensor_packed_accessor_kernel27GenericPackedTensorAccessorIfLm1E17RestrictPtrTraitslES_IfLm2ES0_lES1_
; %bb.0:
	s_clause 0x1
	s_load_b32 s2, s[0:1], 0x64
	s_load_b128 s[4:7], s[0:1], 0x0
	s_bfe_u32 s3, ttmp6, 0x4000c
	s_and_b32 s8, ttmp6, 15
	s_add_co_i32 s3, s3, 1
	s_getreg_b32 s9, hwreg(HW_REG_IB_STS2, 6, 4)
	s_mul_i32 s3, ttmp9, s3
	v_mov_b32_e32 v4, 0
	s_add_co_i32 s8, s8, s3
	s_delay_alu instid0(VALU_DEP_1) | instskip(SKIP_4) | instid1(SALU_CYCLE_1)
	v_mov_b32_e32 v1, v4
	s_wait_kmcnt 0x0
	s_and_b32 s2, s2, 0xffff
	s_cmp_eq_u32 s9, 0
	s_cselect_b32 s3, ttmp9, s8
	v_mad_u32 v0, s3, s2, v0
	s_mov_b32 s2, exec_lo
	s_delay_alu instid0(VALU_DEP_1)
	v_cmpx_gt_i64_e64 s[6:7], v[0:1]
	s_cbranch_execz .LBB0_5
; %bb.1:
	s_clause 0x1
	s_load_b64 s[6:7], s[0:1], 0x28
	s_load_b64 s[2:3], s[0:1], 0x10
	s_wait_kmcnt 0x0
	v_cmp_lt_i64_e64 s8, s[6:7], 1
	s_and_b32 vcc_lo, exec_lo, s8
	s_cbranch_vccnz .LBB0_4
; %bb.2:
	s_load_b128 s[8:11], s[0:1], 0x30
	v_mov_b32_e32 v4, 0
	s_wait_kmcnt 0x0
	v_mul_u64_e32 v[2:3], s[8:9], v[0:1]
	s_clause 0x2
	s_load_b64 s[12:13], s[0:1], 0x18
	s_load_b64 s[14:15], s[0:1], 0x50
	;; [unrolled: 1-line block ×3, first 2 shown]
	s_wait_xcnt 0x0
	s_lshl_b64 s[0:1], s[10:11], 2
	s_wait_kmcnt 0x0
	s_lshl_b64 s[10:11], s[14:15], 2
	s_delay_alu instid0(VALU_DEP_1)
	v_lshl_add_u64 v[2:3], v[2:3], 2, s[12:13]
.LBB0_3:                                ; =>This Inner Loop Header: Depth=1
	global_load_b32 v5, v[2:3], off
	s_load_b32 s12, s[8:9], 0x0
	v_add_nc_u64_e32 v[2:3], s[0:1], v[2:3]
	s_add_nc_u64 s[6:7], s[6:7], -1
	s_wait_xcnt 0x0
	s_add_nc_u64 s[8:9], s[8:9], s[10:11]
	s_cmp_eq_u64 s[6:7], 0
	s_wait_loadcnt 0x0
	s_wait_kmcnt 0x0
	v_fmac_f32_e32 v4, s12, v5
	s_cbranch_scc0 .LBB0_3
.LBB0_4:
	v_mul_u64_e32 v[0:1], s[2:3], v[0:1]
	s_delay_alu instid0(VALU_DEP_1)
	v_lshl_add_u64 v[0:1], v[0:1], 2, s[4:5]
	global_store_b32 v[0:1], v4, off
.LBB0_5:
	s_endpgm
	.section	.rodata,"a",@progbits
	.p2align	6, 0x0
	.amdhsa_kernel _Z29tensor_packed_accessor_kernel27GenericPackedTensorAccessorIfLm1E17RestrictPtrTraitslES_IfLm2ES0_lES1_
		.amdhsa_group_segment_fixed_size 0
		.amdhsa_private_segment_fixed_size 0
		.amdhsa_kernarg_size 344
		.amdhsa_user_sgpr_count 2
		.amdhsa_user_sgpr_dispatch_ptr 0
		.amdhsa_user_sgpr_queue_ptr 0
		.amdhsa_user_sgpr_kernarg_segment_ptr 1
		.amdhsa_user_sgpr_dispatch_id 0
		.amdhsa_user_sgpr_kernarg_preload_length 0
		.amdhsa_user_sgpr_kernarg_preload_offset 0
		.amdhsa_user_sgpr_private_segment_size 0
		.amdhsa_wavefront_size32 1
		.amdhsa_uses_dynamic_stack 0
		.amdhsa_enable_private_segment 0
		.amdhsa_system_sgpr_workgroup_id_x 1
		.amdhsa_system_sgpr_workgroup_id_y 0
		.amdhsa_system_sgpr_workgroup_id_z 0
		.amdhsa_system_sgpr_workgroup_info 0
		.amdhsa_system_vgpr_workitem_id 0
		.amdhsa_next_free_vgpr 6
		.amdhsa_next_free_sgpr 16
		.amdhsa_named_barrier_count 0
		.amdhsa_reserve_vcc 1
		.amdhsa_float_round_mode_32 0
		.amdhsa_float_round_mode_16_64 0
		.amdhsa_float_denorm_mode_32 3
		.amdhsa_float_denorm_mode_16_64 3
		.amdhsa_fp16_overflow 0
		.amdhsa_memory_ordered 1
		.amdhsa_forward_progress 1
		.amdhsa_inst_pref_size 3
		.amdhsa_round_robin_scheduling 0
		.amdhsa_exception_fp_ieee_invalid_op 0
		.amdhsa_exception_fp_denorm_src 0
		.amdhsa_exception_fp_ieee_div_zero 0
		.amdhsa_exception_fp_ieee_overflow 0
		.amdhsa_exception_fp_ieee_underflow 0
		.amdhsa_exception_fp_ieee_inexact 0
		.amdhsa_exception_int_div_zero 0
	.end_amdhsa_kernel
	.text
.Lfunc_end0:
	.size	_Z29tensor_packed_accessor_kernel27GenericPackedTensorAccessorIfLm1E17RestrictPtrTraitslES_IfLm2ES0_lES1_, .Lfunc_end0-_Z29tensor_packed_accessor_kernel27GenericPackedTensorAccessorIfLm1E17RestrictPtrTraitslES_IfLm2ES0_lES1_
                                        ; -- End function
	.set _Z29tensor_packed_accessor_kernel27GenericPackedTensorAccessorIfLm1E17RestrictPtrTraitslES_IfLm2ES0_lES1_.num_vgpr, 6
	.set _Z29tensor_packed_accessor_kernel27GenericPackedTensorAccessorIfLm1E17RestrictPtrTraitslES_IfLm2ES0_lES1_.num_agpr, 0
	.set _Z29tensor_packed_accessor_kernel27GenericPackedTensorAccessorIfLm1E17RestrictPtrTraitslES_IfLm2ES0_lES1_.numbered_sgpr, 16
	.set _Z29tensor_packed_accessor_kernel27GenericPackedTensorAccessorIfLm1E17RestrictPtrTraitslES_IfLm2ES0_lES1_.num_named_barrier, 0
	.set _Z29tensor_packed_accessor_kernel27GenericPackedTensorAccessorIfLm1E17RestrictPtrTraitslES_IfLm2ES0_lES1_.private_seg_size, 0
	.set _Z29tensor_packed_accessor_kernel27GenericPackedTensorAccessorIfLm1E17RestrictPtrTraitslES_IfLm2ES0_lES1_.uses_vcc, 1
	.set _Z29tensor_packed_accessor_kernel27GenericPackedTensorAccessorIfLm1E17RestrictPtrTraitslES_IfLm2ES0_lES1_.uses_flat_scratch, 0
	.set _Z29tensor_packed_accessor_kernel27GenericPackedTensorAccessorIfLm1E17RestrictPtrTraitslES_IfLm2ES0_lES1_.has_dyn_sized_stack, 0
	.set _Z29tensor_packed_accessor_kernel27GenericPackedTensorAccessorIfLm1E17RestrictPtrTraitslES_IfLm2ES0_lES1_.has_recursion, 0
	.set _Z29tensor_packed_accessor_kernel27GenericPackedTensorAccessorIfLm1E17RestrictPtrTraitslES_IfLm2ES0_lES1_.has_indirect_call, 0
	.section	.AMDGPU.csdata,"",@progbits
; Kernel info:
; codeLenInByte = 312
; TotalNumSgprs: 18
; NumVgprs: 6
; ScratchSize: 0
; MemoryBound: 0
; FloatMode: 240
; IeeeMode: 1
; LDSByteSize: 0 bytes/workgroup (compile time only)
; SGPRBlocks: 0
; VGPRBlocks: 0
; NumSGPRsForWavesPerEU: 18
; NumVGPRsForWavesPerEU: 6
; NamedBarCnt: 0
; Occupancy: 16
; WaveLimiterHint : 0
; COMPUTE_PGM_RSRC2:SCRATCH_EN: 0
; COMPUTE_PGM_RSRC2:USER_SGPR: 2
; COMPUTE_PGM_RSRC2:TRAP_HANDLER: 0
; COMPUTE_PGM_RSRC2:TGID_X_EN: 1
; COMPUTE_PGM_RSRC2:TGID_Y_EN: 0
; COMPUTE_PGM_RSRC2:TGID_Z_EN: 0
; COMPUTE_PGM_RSRC2:TIDIG_COMP_CNT: 0
	.text
	.protected	_Z19raw_accessor_kernelllPfPKfS1_ ; -- Begin function _Z19raw_accessor_kernelllPfPKfS1_
	.globl	_Z19raw_accessor_kernelllPfPKfS1_
	.p2align	8
	.type	_Z19raw_accessor_kernelllPfPKfS1_,@function
_Z19raw_accessor_kernelllPfPKfS1_:      ; @_Z19raw_accessor_kernelllPfPKfS1_
; %bb.0:
	s_clause 0x1
	s_load_b32 s2, s[0:1], 0x34
	s_load_b128 s[4:7], s[0:1], 0x0
	s_bfe_u32 s3, ttmp6, 0x4000c
	s_and_b32 s8, ttmp6, 15
	s_add_co_i32 s3, s3, 1
	s_getreg_b32 s9, hwreg(HW_REG_IB_STS2, 6, 4)
	s_mul_i32 s3, ttmp9, s3
	v_mov_b32_e32 v4, 0
	s_add_co_i32 s8, s8, s3
	s_delay_alu instid0(VALU_DEP_1) | instskip(SKIP_4) | instid1(SALU_CYCLE_1)
	v_mov_b32_e32 v1, v4
	s_wait_kmcnt 0x0
	s_and_b32 s2, s2, 0xffff
	s_cmp_eq_u32 s9, 0
	s_cselect_b32 s3, ttmp9, s8
	v_mad_u32 v0, s3, s2, v0
	s_mov_b32 s2, exec_lo
	s_delay_alu instid0(VALU_DEP_1)
	v_cmpx_gt_i64_e64 s[4:5], v[0:1]
	s_cbranch_execz .LBB1_5
; %bb.1:
	v_cmp_lt_i64_e64 s2, s[6:7], 1
	s_and_b32 vcc_lo, exec_lo, s2
	s_cbranch_vccnz .LBB1_4
; %bb.2:
	v_mul_u64_e32 v[2:3], s[6:7], v[0:1]
	s_load_b128 s[8:11], s[0:1], 0x18
	v_mov_b32_e32 v4, 0
	s_wait_kmcnt 0x0
	s_delay_alu instid0(VALU_DEP_2)
	v_lshl_add_u64 v[2:3], v[2:3], 2, s[8:9]
.LBB1_3:                                ; =>This Inner Loop Header: Depth=1
	global_load_b32 v5, v[2:3], off
	s_load_b32 s2, s[10:11], 0x0
	v_add_nc_u64_e32 v[2:3], 4, v[2:3]
	s_add_nc_u64 s[6:7], s[6:7], -1
	s_wait_xcnt 0x0
	s_add_nc_u64 s[10:11], s[10:11], 4
	s_cmp_eq_u64 s[6:7], 0
	s_wait_loadcnt 0x0
	s_wait_kmcnt 0x0
	v_fmac_f32_e32 v4, s2, v5
	s_cbranch_scc0 .LBB1_3
.LBB1_4:
	s_load_b64 s[0:1], s[0:1], 0x10
	s_wait_kmcnt 0x0
	v_lshl_add_u64 v[0:1], v[0:1], 2, s[0:1]
	global_store_b32 v[0:1], v4, off
.LBB1_5:
	s_endpgm
	.section	.rodata,"a",@progbits
	.p2align	6, 0x0
	.amdhsa_kernel _Z19raw_accessor_kernelllPfPKfS1_
		.amdhsa_group_segment_fixed_size 0
		.amdhsa_private_segment_fixed_size 0
		.amdhsa_kernarg_size 296
		.amdhsa_user_sgpr_count 2
		.amdhsa_user_sgpr_dispatch_ptr 0
		.amdhsa_user_sgpr_queue_ptr 0
		.amdhsa_user_sgpr_kernarg_segment_ptr 1
		.amdhsa_user_sgpr_dispatch_id 0
		.amdhsa_user_sgpr_kernarg_preload_length 0
		.amdhsa_user_sgpr_kernarg_preload_offset 0
		.amdhsa_user_sgpr_private_segment_size 0
		.amdhsa_wavefront_size32 1
		.amdhsa_uses_dynamic_stack 0
		.amdhsa_enable_private_segment 0
		.amdhsa_system_sgpr_workgroup_id_x 1
		.amdhsa_system_sgpr_workgroup_id_y 0
		.amdhsa_system_sgpr_workgroup_id_z 0
		.amdhsa_system_sgpr_workgroup_info 0
		.amdhsa_system_vgpr_workitem_id 0
		.amdhsa_next_free_vgpr 6
		.amdhsa_next_free_sgpr 12
		.amdhsa_named_barrier_count 0
		.amdhsa_reserve_vcc 1
		.amdhsa_float_round_mode_32 0
		.amdhsa_float_round_mode_16_64 0
		.amdhsa_float_denorm_mode_32 3
		.amdhsa_float_denorm_mode_16_64 3
		.amdhsa_fp16_overflow 0
		.amdhsa_memory_ordered 1
		.amdhsa_forward_progress 1
		.amdhsa_inst_pref_size 2
		.amdhsa_round_robin_scheduling 0
		.amdhsa_exception_fp_ieee_invalid_op 0
		.amdhsa_exception_fp_denorm_src 0
		.amdhsa_exception_fp_ieee_div_zero 0
		.amdhsa_exception_fp_ieee_overflow 0
		.amdhsa_exception_fp_ieee_underflow 0
		.amdhsa_exception_fp_ieee_inexact 0
		.amdhsa_exception_int_div_zero 0
	.end_amdhsa_kernel
	.text
.Lfunc_end1:
	.size	_Z19raw_accessor_kernelllPfPKfS1_, .Lfunc_end1-_Z19raw_accessor_kernelllPfPKfS1_
                                        ; -- End function
	.set _Z19raw_accessor_kernelllPfPKfS1_.num_vgpr, 6
	.set _Z19raw_accessor_kernelllPfPKfS1_.num_agpr, 0
	.set _Z19raw_accessor_kernelllPfPKfS1_.numbered_sgpr, 12
	.set _Z19raw_accessor_kernelllPfPKfS1_.num_named_barrier, 0
	.set _Z19raw_accessor_kernelllPfPKfS1_.private_seg_size, 0
	.set _Z19raw_accessor_kernelllPfPKfS1_.uses_vcc, 1
	.set _Z19raw_accessor_kernelllPfPKfS1_.uses_flat_scratch, 0
	.set _Z19raw_accessor_kernelllPfPKfS1_.has_dyn_sized_stack, 0
	.set _Z19raw_accessor_kernelllPfPKfS1_.has_recursion, 0
	.set _Z19raw_accessor_kernelllPfPKfS1_.has_indirect_call, 0
	.section	.AMDGPU.csdata,"",@progbits
; Kernel info:
; codeLenInByte = 248
; TotalNumSgprs: 14
; NumVgprs: 6
; ScratchSize: 0
; MemoryBound: 0
; FloatMode: 240
; IeeeMode: 1
; LDSByteSize: 0 bytes/workgroup (compile time only)
; SGPRBlocks: 0
; VGPRBlocks: 0
; NumSGPRsForWavesPerEU: 14
; NumVGPRsForWavesPerEU: 6
; NamedBarCnt: 0
; Occupancy: 16
; WaveLimiterHint : 0
; COMPUTE_PGM_RSRC2:SCRATCH_EN: 0
; COMPUTE_PGM_RSRC2:USER_SGPR: 2
; COMPUTE_PGM_RSRC2:TRAP_HANDLER: 0
; COMPUTE_PGM_RSRC2:TGID_X_EN: 1
; COMPUTE_PGM_RSRC2:TGID_Y_EN: 0
; COMPUTE_PGM_RSRC2:TGID_Z_EN: 0
; COMPUTE_PGM_RSRC2:TIDIG_COMP_CNT: 0
	.text
	.p2alignl 7, 3214868480
	.fill 96, 4, 3214868480
	.section	.AMDGPU.gpr_maximums,"",@progbits
	.set amdgpu.max_num_vgpr, 0
	.set amdgpu.max_num_agpr, 0
	.set amdgpu.max_num_sgpr, 0
	.text
	.type	__hip_cuid_9211ba4a6d86c7ac,@object ; @__hip_cuid_9211ba4a6d86c7ac
	.section	.bss,"aw",@nobits
	.globl	__hip_cuid_9211ba4a6d86c7ac
__hip_cuid_9211ba4a6d86c7ac:
	.byte	0                               ; 0x0
	.size	__hip_cuid_9211ba4a6d86c7ac, 1

	.ident	"AMD clang version 22.0.0git (https://github.com/RadeonOpenCompute/llvm-project roc-7.2.4 26084 f58b06dce1f9c15707c5f808fd002e18c2accf7e)"
	.section	".note.GNU-stack","",@progbits
	.addrsig
	.addrsig_sym __hip_cuid_9211ba4a6d86c7ac
	.amdgpu_metadata
---
amdhsa.kernels:
  - .args:
      - .offset:         0
        .size:           24
        .value_kind:     by_value
      - .offset:         24
        .size:           40
        .value_kind:     by_value
      - .offset:         64
        .size:           24
        .value_kind:     by_value
      - .offset:         88
        .size:           4
        .value_kind:     hidden_block_count_x
      - .offset:         92
        .size:           4
        .value_kind:     hidden_block_count_y
      - .offset:         96
        .size:           4
        .value_kind:     hidden_block_count_z
      - .offset:         100
        .size:           2
        .value_kind:     hidden_group_size_x
      - .offset:         102
        .size:           2
        .value_kind:     hidden_group_size_y
      - .offset:         104
        .size:           2
        .value_kind:     hidden_group_size_z
      - .offset:         106
        .size:           2
        .value_kind:     hidden_remainder_x
      - .offset:         108
        .size:           2
        .value_kind:     hidden_remainder_y
      - .offset:         110
        .size:           2
        .value_kind:     hidden_remainder_z
      - .offset:         128
        .size:           8
        .value_kind:     hidden_global_offset_x
      - .offset:         136
        .size:           8
        .value_kind:     hidden_global_offset_y
      - .offset:         144
        .size:           8
        .value_kind:     hidden_global_offset_z
      - .offset:         152
        .size:           2
        .value_kind:     hidden_grid_dims
    .group_segment_fixed_size: 0
    .kernarg_segment_align: 8
    .kernarg_segment_size: 344
    .language:       OpenCL C
    .language_version:
      - 2
      - 0
    .max_flat_workgroup_size: 1024
    .name:           _Z29tensor_packed_accessor_kernel27GenericPackedTensorAccessorIfLm1E17RestrictPtrTraitslES_IfLm2ES0_lES1_
    .private_segment_fixed_size: 0
    .sgpr_count:     18
    .sgpr_spill_count: 0
    .symbol:         _Z29tensor_packed_accessor_kernel27GenericPackedTensorAccessorIfLm1E17RestrictPtrTraitslES_IfLm2ES0_lES1_.kd
    .uniform_work_group_size: 1
    .uses_dynamic_stack: false
    .vgpr_count:     6
    .vgpr_spill_count: 0
    .wavefront_size: 32
  - .args:
      - .offset:         0
        .size:           8
        .value_kind:     by_value
      - .offset:         8
        .size:           8
        .value_kind:     by_value
      - .actual_access:  write_only
        .address_space:  global
        .offset:         16
        .size:           8
        .value_kind:     global_buffer
      - .actual_access:  read_only
        .address_space:  global
        .offset:         24
        .size:           8
        .value_kind:     global_buffer
      - .actual_access:  read_only
        .address_space:  global
        .offset:         32
        .size:           8
        .value_kind:     global_buffer
      - .offset:         40
        .size:           4
        .value_kind:     hidden_block_count_x
      - .offset:         44
        .size:           4
        .value_kind:     hidden_block_count_y
      - .offset:         48
        .size:           4
        .value_kind:     hidden_block_count_z
      - .offset:         52
        .size:           2
        .value_kind:     hidden_group_size_x
      - .offset:         54
        .size:           2
        .value_kind:     hidden_group_size_y
      - .offset:         56
        .size:           2
        .value_kind:     hidden_group_size_z
      - .offset:         58
        .size:           2
        .value_kind:     hidden_remainder_x
      - .offset:         60
        .size:           2
        .value_kind:     hidden_remainder_y
      - .offset:         62
        .size:           2
        .value_kind:     hidden_remainder_z
      - .offset:         80
        .size:           8
        .value_kind:     hidden_global_offset_x
      - .offset:         88
        .size:           8
        .value_kind:     hidden_global_offset_y
      - .offset:         96
        .size:           8
        .value_kind:     hidden_global_offset_z
      - .offset:         104
        .size:           2
        .value_kind:     hidden_grid_dims
    .group_segment_fixed_size: 0
    .kernarg_segment_align: 8
    .kernarg_segment_size: 296
    .language:       OpenCL C
    .language_version:
      - 2
      - 0
    .max_flat_workgroup_size: 1024
    .name:           _Z19raw_accessor_kernelllPfPKfS1_
    .private_segment_fixed_size: 0
    .sgpr_count:     14
    .sgpr_spill_count: 0
    .symbol:         _Z19raw_accessor_kernelllPfPKfS1_.kd
    .uniform_work_group_size: 1
    .uses_dynamic_stack: false
    .vgpr_count:     6
    .vgpr_spill_count: 0
    .wavefront_size: 32
amdhsa.target:   amdgcn-amd-amdhsa--gfx1250
amdhsa.version:
  - 1
  - 2
...

	.end_amdgpu_metadata
